;; amdgpu-corpus repo=ROCm/rocFFT kind=compiled arch=gfx1030 opt=O3
	.text
	.amdgcn_target "amdgcn-amd-amdhsa--gfx1030"
	.amdhsa_code_object_version 6
	.protected	fft_rtc_back_len52_factors_13_4_wgs_128_tpt_4_halfLds_dim1_dp_op_CI_CI_unitstride_sbrr_C2R_dirReg ; -- Begin function fft_rtc_back_len52_factors_13_4_wgs_128_tpt_4_halfLds_dim1_dp_op_CI_CI_unitstride_sbrr_C2R_dirReg
	.globl	fft_rtc_back_len52_factors_13_4_wgs_128_tpt_4_halfLds_dim1_dp_op_CI_CI_unitstride_sbrr_C2R_dirReg
	.p2align	8
	.type	fft_rtc_back_len52_factors_13_4_wgs_128_tpt_4_halfLds_dim1_dp_op_CI_CI_unitstride_sbrr_C2R_dirReg,@function
fft_rtc_back_len52_factors_13_4_wgs_128_tpt_4_halfLds_dim1_dp_op_CI_CI_unitstride_sbrr_C2R_dirReg: ; @fft_rtc_back_len52_factors_13_4_wgs_128_tpt_4_halfLds_dim1_dp_op_CI_CI_unitstride_sbrr_C2R_dirReg
; %bb.0:
	s_load_dwordx4 s[8:11], s[4:5], 0x18
	v_lshrrev_b32_e32 v1, 2, v0
	v_mov_b32_e32 v67, 0
	v_and_b32_e32 v64, 3, v0
	v_lshl_or_b32 v66, s6, 5, v1
	s_waitcnt lgkmcnt(0)
	v_cmp_gt_u64_e32 vcc_lo, s[10:11], v[66:67]
	v_cmp_le_u64_e64 s0, s[10:11], v[66:67]
	s_and_saveexec_b32 s1, s0
	s_xor_b32 s0, exec_lo, s1
; %bb.1:
	v_and_b32_e32 v64, 3, v0
; %bb.2:
	s_or_saveexec_b32 s1, s0
	s_load_dwordx2 s[6:7], s[4:5], 0x0
	s_load_dwordx2 s[2:3], s[8:9], 0x8
	v_mul_u32_u24_e32 v68, 53, v1
	v_lshlrev_b32_e32 v56, 4, v68
	s_xor_b32 exec_lo, exec_lo, s1
	s_cbranch_execz .LBB0_6
; %bb.3:
	s_clause 0x1
	s_load_dwordx2 s[8:9], s[4:5], 0x10
	s_load_dwordx2 s[10:11], s[4:5], 0x50
	s_waitcnt lgkmcnt(0)
	s_load_dwordx2 s[8:9], s[8:9], 0x8
	s_waitcnt lgkmcnt(0)
	v_mad_u64_u32 v[0:1], null, s8, v66, 0
	s_mov_b32 s8, exec_lo
	v_mad_u64_u32 v[1:2], null, s9, v66, v[1:2]
	v_lshlrev_b32_e32 v2, 4, v64
	v_lshlrev_b64 v[0:1], 4, v[0:1]
	v_add_co_u32 v0, s0, s10, v0
	v_add_co_ci_u32_e64 v1, s0, s11, v1, s0
	v_add_co_u32 v51, s0, v0, v2
	v_add_co_ci_u32_e64 v52, s0, 0, v1, s0
	v_add3_u32 v2, 0, v56, v2
	s_clause 0xc
	global_load_dwordx4 v[3:6], v[51:52], off
	global_load_dwordx4 v[7:10], v[51:52], off offset:64
	global_load_dwordx4 v[11:14], v[51:52], off offset:128
	;; [unrolled: 1-line block ×12, first 2 shown]
	s_waitcnt vmcnt(12)
	ds_write_b128 v2, v[3:6]
	s_waitcnt vmcnt(11)
	ds_write_b128 v2, v[7:10] offset:64
	s_waitcnt vmcnt(10)
	ds_write_b128 v2, v[11:14] offset:128
	;; [unrolled: 2-line block ×12, first 2 shown]
	v_cmpx_eq_u32_e32 3, v64
	s_cbranch_execz .LBB0_5
; %bb.4:
	global_load_dwordx4 v[3:6], v[0:1], off offset:832
	v_mov_b32_e32 v64, 3
	s_waitcnt vmcnt(0)
	ds_write_b128 v2, v[3:6] offset:784
.LBB0_5:
	s_or_b32 exec_lo, exec_lo, s8
.LBB0_6:
	s_or_b32 exec_lo, exec_lo, s1
	v_lshl_add_u32 v67, v68, 4, 0
	v_lshlrev_b32_e32 v0, 4, v64
	s_waitcnt lgkmcnt(0)
	s_barrier
	buffer_gl0_inv
	v_cmp_eq_u32_e64 s0, 0, v64
	v_add_nc_u32_e32 v57, v67, v0
	v_sub_nc_u32_e32 v10, v67, v0
	s_mov_b32 s8, exec_lo
                                        ; implicit-def: $vgpr4_vgpr5
	ds_read_b64 v[6:7], v57
	ds_read_b64 v[8:9], v10 offset:832
	s_waitcnt lgkmcnt(0)
	v_add_f64 v[0:1], v[6:7], v[8:9]
	v_add_f64 v[2:3], v[6:7], -v[8:9]
	v_cmpx_ne_u32_e32 0, v64
	s_xor_b32 s8, exec_lo, s8
	s_cbranch_execz .LBB0_8
; %bb.7:
	v_mov_b32_e32 v65, 0
	v_add_f64 v[13:14], v[6:7], v[8:9]
	v_add_f64 v[15:16], v[6:7], -v[8:9]
	v_lshlrev_b64 v[0:1], 4, v[64:65]
	v_add_co_u32 v0, s1, s6, v0
	v_add_co_ci_u32_e64 v1, s1, s7, v1, s1
	global_load_dwordx4 v[2:5], v[0:1], off offset:624
	ds_read_b64 v[0:1], v10 offset:840
	ds_read_b64 v[11:12], v57 offset:8
	s_waitcnt lgkmcnt(0)
	v_add_f64 v[6:7], v[0:1], v[11:12]
	v_add_f64 v[0:1], v[11:12], -v[0:1]
	s_waitcnt vmcnt(0)
	v_fma_f64 v[8:9], v[15:16], v[4:5], v[13:14]
	v_fma_f64 v[11:12], -v[15:16], v[4:5], v[13:14]
	v_fma_f64 v[13:14], v[6:7], v[4:5], -v[0:1]
	v_fma_f64 v[4:5], v[6:7], v[4:5], v[0:1]
	v_fma_f64 v[0:1], -v[6:7], v[2:3], v[8:9]
	v_fma_f64 v[6:7], v[6:7], v[2:3], v[11:12]
	v_fma_f64 v[8:9], v[15:16], v[2:3], v[13:14]
	;; [unrolled: 1-line block ×3, first 2 shown]
	v_mov_b32_e32 v4, v64
	v_mov_b32_e32 v5, v65
	ds_write_b128 v10, v[6:9] offset:832
.LBB0_8:
	s_andn2_saveexec_b32 s1, s8
	s_cbranch_execz .LBB0_10
; %bb.9:
	ds_read_b128 v[4:7], v67 offset:416
	s_waitcnt lgkmcnt(0)
	v_add_f64 v[11:12], v[4:5], v[4:5]
	v_mul_f64 v[13:14], v[6:7], -2.0
	v_mov_b32_e32 v4, 0
	v_mov_b32_e32 v5, 0
	ds_write_b128 v67, v[11:14] offset:416
.LBB0_10:
	s_or_b32 exec_lo, exec_lo, s1
	v_lshlrev_b64 v[4:5], 4, v[4:5]
	s_add_u32 s1, s6, 0x270
	s_addc_u32 s8, s7, 0
	v_add_co_u32 v4, s1, s1, v4
	v_add_co_ci_u32_e64 v5, s1, s8, v5, s1
	s_mov_b32 s8, exec_lo
	s_clause 0x2
	global_load_dwordx4 v[6:9], v[4:5], off offset:64
	global_load_dwordx4 v[11:14], v[4:5], off offset:128
	;; [unrolled: 1-line block ×3, first 2 shown]
	ds_write_b128 v57, v[0:3]
	ds_read_b128 v[0:3], v57 offset:64
	ds_read_b128 v[19:22], v10 offset:768
	global_load_dwordx4 v[23:26], v[4:5], off offset:256
	s_waitcnt lgkmcnt(0)
	v_add_f64 v[27:28], v[0:1], v[19:20]
	v_add_f64 v[29:30], v[21:22], v[2:3]
	v_add_f64 v[31:32], v[0:1], -v[19:20]
	v_add_f64 v[0:1], v[2:3], -v[21:22]
	s_waitcnt vmcnt(3)
	v_fma_f64 v[2:3], v[31:32], v[8:9], v[27:28]
	v_fma_f64 v[19:20], v[29:30], v[8:9], v[0:1]
	v_fma_f64 v[21:22], -v[31:32], v[8:9], v[27:28]
	v_fma_f64 v[8:9], v[29:30], v[8:9], -v[0:1]
	v_fma_f64 v[0:1], -v[29:30], v[6:7], v[2:3]
	v_fma_f64 v[2:3], v[31:32], v[6:7], v[19:20]
	v_fma_f64 v[19:20], v[29:30], v[6:7], v[21:22]
	;; [unrolled: 1-line block ×3, first 2 shown]
	ds_write_b128 v57, v[0:3] offset:64
	ds_write_b128 v10, v[19:22] offset:768
	ds_read_b128 v[0:3], v57 offset:128
	ds_read_b128 v[6:9], v10 offset:704
	global_load_dwordx4 v[19:22], v[4:5], off offset:320
	s_waitcnt lgkmcnt(0)
	v_add_f64 v[27:28], v[0:1], v[6:7]
	v_add_f64 v[29:30], v[8:9], v[2:3]
	v_add_f64 v[31:32], v[0:1], -v[6:7]
	v_add_f64 v[0:1], v[2:3], -v[8:9]
	s_waitcnt vmcnt(3)
	v_fma_f64 v[2:3], v[31:32], v[13:14], v[27:28]
	v_fma_f64 v[6:7], v[29:30], v[13:14], v[0:1]
	v_fma_f64 v[8:9], -v[31:32], v[13:14], v[27:28]
	v_fma_f64 v[13:14], v[29:30], v[13:14], -v[0:1]
	v_fma_f64 v[0:1], -v[29:30], v[11:12], v[2:3]
	v_fma_f64 v[2:3], v[31:32], v[11:12], v[6:7]
	v_fma_f64 v[6:7], v[29:30], v[11:12], v[8:9]
	v_fma_f64 v[8:9], v[31:32], v[11:12], v[13:14]
	ds_write_b128 v57, v[0:3] offset:128
	ds_write_b128 v10, v[6:9] offset:704
	ds_read_b128 v[0:3], v57 offset:192
	ds_read_b128 v[6:9], v10 offset:640
	s_waitcnt lgkmcnt(0)
	v_add_f64 v[11:12], v[0:1], v[6:7]
	v_add_f64 v[13:14], v[8:9], v[2:3]
	v_add_f64 v[27:28], v[0:1], -v[6:7]
	v_add_f64 v[0:1], v[2:3], -v[8:9]
	s_waitcnt vmcnt(2)
	v_fma_f64 v[2:3], v[27:28], v[17:18], v[11:12]
	v_fma_f64 v[6:7], v[13:14], v[17:18], v[0:1]
	v_fma_f64 v[8:9], -v[27:28], v[17:18], v[11:12]
	v_fma_f64 v[11:12], v[13:14], v[17:18], -v[0:1]
	v_fma_f64 v[0:1], -v[13:14], v[15:16], v[2:3]
	v_fma_f64 v[2:3], v[27:28], v[15:16], v[6:7]
	v_fma_f64 v[6:7], v[13:14], v[15:16], v[8:9]
	v_fma_f64 v[8:9], v[27:28], v[15:16], v[11:12]
	ds_write_b128 v57, v[0:3] offset:192
	ds_write_b128 v10, v[6:9] offset:640
	ds_read_b128 v[0:3], v57 offset:256
	ds_read_b128 v[6:9], v10 offset:576
	;; [unrolled: 18-line block ×3, first 2 shown]
	s_waitcnt lgkmcnt(0)
	v_add_f64 v[11:12], v[0:1], v[6:7]
	v_add_f64 v[13:14], v[8:9], v[2:3]
	v_add_f64 v[15:16], v[0:1], -v[6:7]
	v_add_f64 v[0:1], v[2:3], -v[8:9]
	s_waitcnt vmcnt(0)
	v_fma_f64 v[2:3], v[15:16], v[21:22], v[11:12]
	v_fma_f64 v[6:7], v[13:14], v[21:22], v[0:1]
	v_fma_f64 v[8:9], -v[15:16], v[21:22], v[11:12]
	v_fma_f64 v[11:12], v[13:14], v[21:22], -v[0:1]
	v_fma_f64 v[0:1], -v[13:14], v[19:20], v[2:3]
	v_fma_f64 v[2:3], v[15:16], v[19:20], v[6:7]
	v_fma_f64 v[6:7], v[13:14], v[19:20], v[8:9]
	;; [unrolled: 1-line block ×3, first 2 shown]
	v_or_b32_e32 v11, 24, v64
	ds_write_b128 v57, v[0:3] offset:320
	ds_write_b128 v10, v[6:9] offset:512
	v_cmpx_gt_u32_e32 26, v11
	s_cbranch_execz .LBB0_12
; %bb.11:
	global_load_dwordx4 v[0:3], v[4:5], off offset:384
	ds_read_b128 v[4:7], v57 offset:384
	ds_read_b128 v[11:14], v10 offset:448
	s_waitcnt lgkmcnt(0)
	v_add_f64 v[8:9], v[4:5], v[11:12]
	v_add_f64 v[15:16], v[13:14], v[6:7]
	v_add_f64 v[11:12], v[4:5], -v[11:12]
	v_add_f64 v[4:5], v[6:7], -v[13:14]
	s_waitcnt vmcnt(0)
	v_fma_f64 v[6:7], v[11:12], v[2:3], v[8:9]
	v_fma_f64 v[13:14], v[15:16], v[2:3], v[4:5]
	v_fma_f64 v[8:9], -v[11:12], v[2:3], v[8:9]
	v_fma_f64 v[17:18], v[15:16], v[2:3], -v[4:5]
	v_fma_f64 v[2:3], -v[15:16], v[0:1], v[6:7]
	v_fma_f64 v[4:5], v[11:12], v[0:1], v[13:14]
	v_fma_f64 v[6:7], v[15:16], v[0:1], v[8:9]
	;; [unrolled: 1-line block ×3, first 2 shown]
	ds_write_b128 v57, v[2:5] offset:384
	ds_write_b128 v10, v[6:9] offset:448
.LBB0_12:
	s_or_b32 exec_lo, exec_lo, s8
	v_lshl_add_u32 v69, v64, 4, 0
	s_waitcnt lgkmcnt(0)
	s_barrier
	buffer_gl0_inv
	v_add_nc_u32_e32 v65, v69, v56
	s_barrier
	buffer_gl0_inv
	s_mov_b32 s18, 0x4267c47c
	ds_read_b128 v[0:3], v57
	ds_read_b128 v[12:15], v65 offset:64
	ds_read_b128 v[20:23], v65 offset:128
	;; [unrolled: 1-line block ×3, first 2 shown]
	s_mov_b32 s10, 0xe00740e9
	s_mov_b32 s19, 0xbfddbe06
	;; [unrolled: 1-line block ×18, first 2 shown]
	s_waitcnt lgkmcnt(2)
	v_add_f64 v[4:5], v[0:1], v[12:13]
	v_add_f64 v[6:7], v[2:3], v[14:15]
	s_mov_b32 s29, 0xbfd6b1d8
	s_mov_b32 s37, 0x3fefc445
	;; [unrolled: 1-line block ×17, first 2 shown]
	s_waitcnt lgkmcnt(1)
	v_add_f64 v[4:5], v[4:5], v[20:21]
	v_add_f64 v[6:7], v[6:7], v[22:23]
	s_waitcnt lgkmcnt(0)
	v_add_f64 v[24:25], v[4:5], v[16:17]
	v_add_f64 v[26:27], v[6:7], v[18:19]
	ds_read_b128 v[8:11], v65 offset:256
	ds_read_b128 v[4:7], v65 offset:320
	;; [unrolled: 1-line block ×9, first 2 shown]
	s_waitcnt lgkmcnt(0)
	s_barrier
	buffer_gl0_inv
	v_add_f64 v[24:25], v[24:25], v[8:9]
	v_add_f64 v[26:27], v[26:27], v[10:11]
	v_add_f64 v[62:63], v[14:15], -v[60:61]
	v_add_f64 v[82:83], v[14:15], v[60:61]
	v_add_f64 v[46:47], v[22:23], -v[72:73]
	v_add_f64 v[84:85], v[12:13], v[58:59]
	v_add_f64 v[50:51], v[22:23], v[72:73]
	v_add_f64 v[88:89], v[12:13], -v[58:59]
	v_add_f64 v[12:13], v[20:21], v[70:71]
	v_add_f64 v[40:41], v[18:19], v[76:77]
	v_add_f64 v[38:39], v[20:21], -v[70:71]
	v_add_f64 v[48:49], v[16:17], -v[74:75]
	;; [unrolled: 1-line block ×3, first 2 shown]
	v_add_f64 v[24:25], v[24:25], v[4:5]
	v_add_f64 v[26:27], v[26:27], v[6:7]
	v_mul_f64 v[86:87], v[62:63], s[18:19]
	v_mul_f64 v[90:91], v[82:83], s[10:11]
	v_mul_f64 v[92:93], v[46:47], s[12:13]
	v_mul_f64 v[112:113], v[82:83], s[28:29]
	v_mul_f64 v[94:95], v[50:51], s[20:21]
	v_mul_f64 v[114:115], v[82:83], s[34:35]
	v_mul_f64 v[110:111], v[62:63], s[22:23]
	v_mul_f64 v[100:101], v[40:41], s[26:27]
	v_mul_f64 v[122:123], v[46:47], s[16:17]
	v_mul_f64 v[124:125], v[50:51], s[28:29]
	v_mul_f64 v[116:117], v[36:37], s[22:23]
	v_mul_f64 v[126:127], v[46:47], s[24:25]
	v_mul_f64 v[128:129], v[50:51], s[42:43]
	v_mul_f64 v[132:133], v[40:41], s[42:43]
	v_add_f64 v[14:15], v[24:25], v[52:53]
	v_add_f64 v[24:25], v[26:27], v[54:55]
	v_fma_f64 v[32:33], v[84:85], s[10:11], v[86:87]
	v_add_f64 v[26:27], v[10:11], -v[30:31]
	v_fma_f64 v[102:103], v[38:39], s[30:31], v[94:95]
	v_fma_f64 v[94:95], v[38:39], s[12:13], v[94:95]
	;; [unrolled: 1-line block ×3, first 2 shown]
	v_fma_f64 v[110:111], v[84:85], s[34:35], -v[110:111]
	v_add_f64 v[22:23], v[14:15], v[78:79]
	v_add_f64 v[24:25], v[24:25], v[80:81]
	v_add_f64 v[14:15], v[18:19], -v[76:77]
	v_fma_f64 v[18:19], v[88:89], s[14:15], v[90:91]
	v_add_f64 v[98:99], v[0:1], v[32:33]
	v_add_f64 v[32:33], v[6:7], v[44:45]
	v_mul_f64 v[108:109], v[26:27], s[16:17]
	v_fma_f64 v[90:91], v[88:89], s[18:19], v[90:91]
	v_add_f64 v[138:139], v[0:1], v[138:139]
	v_add_f64 v[110:111], v[0:1], v[110:111]
	;; [unrolled: 1-line block ×6, first 2 shown]
	v_mul_f64 v[96:97], v[14:15], s[8:9]
	v_fma_f64 v[10:11], v[12:13], s[20:21], v[92:93]
	v_add_f64 v[18:19], v[2:3], v[18:19]
	v_add_f64 v[16:17], v[4:5], v[42:43]
	v_add_f64 v[44:45], v[54:55], -v[80:81]
	v_fma_f64 v[92:93], v[12:13], s[20:21], -v[92:93]
	v_add_f64 v[90:91], v[2:3], v[90:91]
	v_mul_f64 v[130:131], v[14:15], s[24:25]
	v_add_f64 v[104:105], v[20:21], v[28:29]
	v_add_f64 v[106:107], v[34:35], v[30:31]
	v_add_f64 v[34:35], v[8:9], v[28:29]
	v_add_f64 v[30:31], v[8:9], -v[28:29]
	v_fma_f64 v[6:7], v[24:25], s[26:27], v[96:97]
	v_add_f64 v[8:9], v[10:11], v[98:99]
	v_add_f64 v[28:29], v[4:5], -v[42:43]
	v_mul_f64 v[98:99], v[22:23], s[28:29]
	v_fma_f64 v[4:5], v[48:49], s[36:37], v[100:101]
	v_add_f64 v[10:11], v[102:103], v[18:19]
	v_add_f64 v[42:43], v[54:55], v[80:81]
	;; [unrolled: 1-line block ×3, first 2 shown]
	v_add_f64 v[20:21], v[52:53], -v[78:79]
	v_mul_f64 v[78:79], v[62:63], s[12:13]
	v_mul_f64 v[80:81], v[62:63], s[8:9]
	;; [unrolled: 1-line block ×5, first 2 shown]
	v_fma_f64 v[134:135], v[16:17], s[34:35], v[116:117]
	v_fma_f64 v[96:97], v[24:25], s[26:27], -v[96:97]
	v_add_f64 v[90:91], v[94:95], v[90:91]
	v_fma_f64 v[100:101], v[48:49], s[8:9], v[100:101]
	v_add_f64 v[74:75], v[104:105], v[74:75]
	v_add_f64 v[76:77], v[106:107], v[76:77]
	v_mul_f64 v[104:105], v[82:83], s[20:21]
	v_mul_f64 v[106:107], v[82:83], s[26:27]
	v_fma_f64 v[118:119], v[34:35], s[28:29], v[108:109]
	v_add_f64 v[6:7], v[6:7], v[8:9]
	v_mul_f64 v[8:9], v[82:83], s[42:43]
	v_mul_f64 v[82:83], v[32:33], s[34:35]
	v_fma_f64 v[120:121], v[30:31], s[38:39], v[98:99]
	v_add_f64 v[4:5], v[4:5], v[10:11]
	v_mul_f64 v[54:55], v[42:43], s[42:43]
	v_mul_f64 v[94:95], v[26:27], s[40:41]
	v_fma_f64 v[108:109], v[34:35], s[28:29], -v[108:109]
	v_fma_f64 v[98:99], v[30:31], s[16:17], v[98:99]
	v_fma_f64 v[116:117], v[16:17], s[34:35], -v[116:117]
	v_fma_f64 v[142:143], v[84:85], s[42:43], v[62:63]
	v_fma_f64 v[62:63], v[84:85], s[42:43], -v[62:63]
	v_add_f64 v[90:91], v[100:101], v[90:91]
	v_add_f64 v[10:11], v[74:75], v[70:71]
	;; [unrolled: 1-line block ×3, first 2 shown]
	v_fma_f64 v[72:73], v[84:85], s[10:11], -v[86:87]
	v_fma_f64 v[74:75], v[84:85], s[20:21], v[78:79]
	v_fma_f64 v[76:77], v[84:85], s[20:21], -v[78:79]
	v_add_f64 v[118:119], v[118:119], v[6:7]
	v_fma_f64 v[78:79], v[84:85], s[26:27], v[80:81]
	v_fma_f64 v[136:137], v[28:29], s[40:41], v[82:83]
	v_fma_f64 v[80:81], v[84:85], s[26:27], -v[80:81]
	v_add_f64 v[120:121], v[120:121], v[4:5]
	v_fma_f64 v[86:87], v[84:85], s[28:29], v[102:103]
	v_fma_f64 v[102:103], v[84:85], s[28:29], -v[102:103]
	v_fma_f64 v[140:141], v[88:89], s[30:31], v[104:105]
	v_fma_f64 v[104:105], v[88:89], s[12:13], v[104:105]
	;; [unrolled: 1-line block ×6, first 2 shown]
	v_add_f64 v[142:143], v[0:1], v[142:143]
	v_mul_f64 v[100:101], v[36:37], s[36:37]
	v_fma_f64 v[82:83], v[28:29], s[22:23], v[82:83]
	v_add_f64 v[90:91], v[98:99], v[90:91]
	v_add_f64 v[4:5], v[10:11], v[58:59]
	;; [unrolled: 1-line block ×3, first 2 shown]
	v_fma_f64 v[10:11], v[88:89], s[38:39], v[112:113]
	v_fma_f64 v[58:59], v[88:89], s[16:17], v[112:113]
	;; [unrolled: 1-line block ×5, first 2 shown]
	v_add_f64 v[112:113], v[134:135], v[118:119]
	v_fma_f64 v[114:115], v[20:21], s[44:45], v[54:55]
	v_add_f64 v[118:119], v[136:137], v[120:121]
	v_add_f64 v[72:73], v[0:1], v[72:73]
	v_fma_f64 v[120:121], v[12:13], s[28:29], v[122:123]
	v_add_f64 v[74:75], v[0:1], v[74:75]
	v_add_f64 v[134:135], v[2:3], v[140:141]
	;; [unrolled: 1-line block ×17, first 2 shown]
	v_fma_f64 v[62:63], v[38:39], s[38:39], v[124:125]
	v_fma_f64 v[144:145], v[12:13], s[42:43], v[126:127]
	v_add_f64 v[8:9], v[88:89], v[112:113]
	v_add_f64 v[10:11], v[114:115], v[118:119]
	v_mul_f64 v[88:89], v[14:15], s[38:39]
	v_fma_f64 v[112:113], v[38:39], s[44:45], v[128:129]
	v_fma_f64 v[114:115], v[12:13], s[42:43], -v[126:127]
	v_add_f64 v[72:73], v[92:93], v[72:73]
	v_mul_f64 v[92:93], v[40:41], s[28:29]
	v_fma_f64 v[118:119], v[38:39], s[24:25], v[128:129]
	v_add_f64 v[74:75], v[120:121], v[74:75]
	v_mul_f64 v[120:121], v[22:23], s[34:35]
	v_fma_f64 v[126:127], v[24:25], s[42:43], v[130:131]
	v_fma_f64 v[128:129], v[48:49], s[44:45], v[132:133]
	v_mul_f64 v[98:99], v[50:51], s[34:35]
	v_add_f64 v[82:83], v[82:83], v[90:91]
	v_mul_f64 v[90:91], v[40:41], s[10:11]
	v_fma_f64 v[52:53], v[18:19], s[42:43], -v[52:53]
	v_fma_f64 v[54:55], v[20:21], s[24:25], v[54:55]
	v_add_f64 v[62:63], v[62:63], v[134:135]
	v_add_f64 v[78:79], v[144:145], v[78:79]
	v_fma_f64 v[134:135], v[24:25], s[28:29], v[88:89]
	v_add_f64 v[112:113], v[112:113], v[136:137]
	v_add_f64 v[80:81], v[114:115], v[80:81]
	v_fma_f64 v[88:89], v[24:25], s[28:29], -v[88:89]
	v_fma_f64 v[114:115], v[48:49], s[16:17], v[92:93]
	v_add_f64 v[84:85], v[118:119], v[84:85]
	v_mul_f64 v[118:119], v[26:27], s[14:15]
	v_fma_f64 v[92:93], v[48:49], s[38:39], v[92:93]
	v_add_f64 v[72:73], v[96:97], v[72:73]
	v_mul_f64 v[96:97], v[22:23], s[10:11]
	v_add_f64 v[74:75], v[126:127], v[74:75]
	v_mul_f64 v[126:127], v[32:33], s[26:27]
	v_mul_f64 v[136:137], v[22:23], s[26:27]
	v_add_f64 v[62:63], v[128:129], v[62:63]
	v_mul_f64 v[128:129], v[36:37], s[12:13]
	v_add_f64 v[78:79], v[134:135], v[78:79]
	v_fma_f64 v[134:135], v[34:35], s[34:35], v[94:95]
	v_add_f64 v[80:81], v[88:89], v[80:81]
	v_add_f64 v[112:113], v[114:115], v[112:113]
	v_fma_f64 v[114:115], v[30:31], s[22:23], v[120:121]
	v_fma_f64 v[88:89], v[34:35], s[10:11], v[118:119]
	v_add_f64 v[84:85], v[92:93], v[84:85]
	v_fma_f64 v[118:119], v[34:35], s[10:11], -v[118:119]
	v_fma_f64 v[92:93], v[30:31], s[18:19], v[96:97]
	v_add_f64 v[72:73], v[108:109], v[72:73]
	v_mul_f64 v[108:109], v[46:47], s[40:41]
	v_fma_f64 v[96:97], v[30:31], s[14:15], v[96:97]
	v_add_f64 v[74:75], v[134:135], v[74:75]
	v_mul_f64 v[134:135], v[32:33], s[20:21]
	v_add_f64 v[62:63], v[114:115], v[62:63]
	v_mul_f64 v[114:115], v[14:15], s[14:15]
	v_add_f64 v[78:79], v[88:89], v[78:79]
	v_fma_f64 v[88:89], v[16:17], s[26:27], v[100:101]
	v_add_f64 v[92:93], v[92:93], v[112:113]
	v_fma_f64 v[112:113], v[28:29], s[8:9], v[126:127]
	;; [unrolled: 2-line block ×5, first 2 shown]
	v_fma_f64 v[108:109], v[12:13], s[34:35], -v[108:109]
	v_fma_f64 v[98:99], v[38:39], s[40:41], v[98:99]
	v_fma_f64 v[128:129], v[16:17], s[20:21], -v[128:129]
	v_add_f64 v[74:75], v[88:89], v[74:75]
	v_fma_f64 v[88:89], v[28:29], s[30:31], v[134:135]
	v_add_f64 v[62:63], v[112:113], v[62:63]
	v_fma_f64 v[112:113], v[24:25], s[10:11], v[114:115]
	v_add_f64 v[78:79], v[118:119], v[78:79]
	v_mul_f64 v[118:119], v[26:27], s[8:9]
	v_add_f64 v[86:87], v[96:97], v[86:87]
	v_fma_f64 v[114:115], v[24:25], s[10:11], -v[114:115]
	v_add_f64 v[96:97], v[116:117], v[140:141]
	v_fma_f64 v[116:117], v[48:49], s[18:19], v[90:91]
	v_add_f64 v[102:103], v[108:109], v[102:103]
	v_mul_f64 v[108:109], v[32:33], s[42:43]
	v_fma_f64 v[134:135], v[28:29], s[12:13], v[134:135]
	v_add_f64 v[58:59], v[98:99], v[58:59]
	v_fma_f64 v[90:91], v[48:49], s[14:15], v[90:91]
	v_add_f64 v[80:81], v[128:129], v[80:81]
	v_mul_f64 v[128:129], v[14:15], s[12:13]
	v_mul_f64 v[14:15], v[14:15], s[22:23]
	v_add_f64 v[88:89], v[88:89], v[92:93]
	v_add_f64 v[86:87], v[112:113], v[86:87]
	v_fma_f64 v[112:113], v[30:31], s[36:37], v[136:137]
	v_add_f64 v[92:93], v[116:117], v[96:97]
	v_fma_f64 v[96:97], v[34:35], s[26:27], v[118:119]
	v_mul_f64 v[116:117], v[36:37], s[44:45]
	v_fma_f64 v[98:99], v[28:29], s[24:25], v[108:109]
	v_add_f64 v[102:103], v[114:115], v[102:103]
	v_mul_f64 v[114:115], v[50:51], s[26:27]
	v_fma_f64 v[118:119], v[34:35], s[26:27], -v[118:119]
	v_mul_f64 v[50:51], v[50:51], s[10:11]
	v_add_f64 v[84:85], v[134:135], v[84:85]
	v_add_f64 v[58:59], v[90:91], v[58:59]
	v_fma_f64 v[90:91], v[30:31], s[8:9], v[136:137]
	v_mul_f64 v[134:135], v[40:41], s[20:21]
	v_mul_f64 v[40:41], v[40:41], s[34:35]
	v_fma_f64 v[108:109], v[28:29], s[44:45], v[108:109]
	v_add_f64 v[92:93], v[112:113], v[92:93]
	v_add_f64 v[86:87], v[96:97], v[86:87]
	v_fma_f64 v[96:97], v[16:17], s[42:43], v[116:117]
	v_mul_f64 v[112:113], v[46:47], s[36:37]
	v_mul_f64 v[46:47], v[46:47], s[14:15]
	v_add_f64 v[102:103], v[118:119], v[102:103]
	v_fma_f64 v[118:119], v[38:39], s[18:19], v[50:51]
	v_fma_f64 v[50:51], v[38:39], s[14:15], v[50:51]
	v_add_f64 v[58:59], v[90:91], v[58:59]
	v_fma_f64 v[90:91], v[16:17], s[42:43], -v[116:117]
	v_fma_f64 v[116:117], v[24:25], s[20:21], -v[128:129]
	v_add_f64 v[92:93], v[98:99], v[92:93]
	v_fma_f64 v[98:99], v[38:39], s[8:9], v[114:115]
	v_add_f64 v[86:87], v[96:97], v[86:87]
	v_fma_f64 v[96:97], v[12:13], s[26:27], v[112:113]
	v_fma_f64 v[112:113], v[12:13], s[26:27], -v[112:113]
	v_fma_f64 v[114:115], v[38:39], s[36:37], v[114:115]
	v_fma_f64 v[136:137], v[12:13], s[10:11], v[46:47]
	v_fma_f64 v[46:47], v[12:13], s[10:11], -v[46:47]
	v_fma_f64 v[12:13], v[12:13], s[28:29], -v[122:123]
	v_fma_f64 v[38:39], v[38:39], s[16:17], v[124:125]
	v_add_f64 v[106:107], v[118:119], v[106:107]
	v_fma_f64 v[118:119], v[48:49], s[12:13], v[134:135]
	v_mul_f64 v[122:123], v[26:27], s[44:45]
	v_fma_f64 v[124:125], v[48:49], s[40:41], v[40:41]
	v_add_f64 v[2:3], v[50:51], v[2:3]
	v_fma_f64 v[40:41], v[48:49], s[22:23], v[40:41]
	v_mul_f64 v[26:27], v[26:27], s[30:31]
	v_add_f64 v[58:59], v[108:109], v[58:59]
	v_add_f64 v[50:51], v[90:91], v[102:103]
	v_mul_f64 v[90:91], v[44:45], s[14:15]
	v_mul_f64 v[102:103], v[44:45], s[22:23]
	v_add_f64 v[60:61], v[98:99], v[60:61]
	v_fma_f64 v[98:99], v[24:25], s[20:21], v[128:129]
	v_mul_f64 v[128:129], v[22:23], s[42:43]
	v_add_f64 v[110:111], v[112:113], v[110:111]
	v_fma_f64 v[112:113], v[48:49], s[30:31], v[134:135]
	v_add_f64 v[96:97], v[96:97], v[138:139]
	v_add_f64 v[70:71], v[114:115], v[70:71]
	;; [unrolled: 1-line block ×4, first 2 shown]
	v_fma_f64 v[46:47], v[24:25], s[34:35], v[14:15]
	v_fma_f64 v[14:15], v[24:25], s[34:35], -v[14:15]
	v_add_f64 v[12:13], v[12:13], v[76:77]
	v_add_f64 v[38:39], v[38:39], v[104:105]
	v_fma_f64 v[24:25], v[24:25], s[42:43], -v[130:131]
	v_mul_f64 v[22:23], v[22:23], s[20:21]
	v_fma_f64 v[48:49], v[48:49], s[24:25], v[132:133]
	v_fma_f64 v[104:105], v[34:35], s[42:43], v[122:123]
	v_add_f64 v[2:3], v[40:41], v[2:3]
	v_fma_f64 v[40:41], v[34:35], s[20:21], v[26:27]
	v_add_f64 v[106:107], v[124:125], v[106:107]
	v_fma_f64 v[26:27], v[34:35], s[20:21], -v[26:27]
	v_fma_f64 v[108:109], v[30:31], s[24:25], v[128:129]
	v_add_f64 v[60:61], v[112:113], v[60:61]
	v_add_f64 v[76:77], v[98:99], v[96:97]
	v_add_f64 v[96:97], v[116:117], v[110:111]
	v_add_f64 v[70:71], v[118:119], v[70:71]
	v_fma_f64 v[110:111], v[34:35], s[42:43], -v[122:123]
	v_add_f64 v[46:47], v[46:47], v[114:115]
	v_add_f64 v[0:1], v[14:15], v[0:1]
	v_mul_f64 v[14:15], v[36:37], s[14:15]
	v_fma_f64 v[112:113], v[30:31], s[44:45], v[128:129]
	v_add_f64 v[12:13], v[24:25], v[12:13]
	v_fma_f64 v[24:25], v[30:31], s[12:13], v[22:23]
	v_add_f64 v[38:39], v[48:49], v[38:39]
	v_mul_f64 v[48:49], v[32:33], s[10:11]
	v_fma_f64 v[22:23], v[30:31], s[30:31], v[22:23]
	v_fma_f64 v[34:35], v[34:35], s[34:35], -v[94:95]
	v_mul_f64 v[36:37], v[36:37], s[16:17]
	v_fma_f64 v[30:31], v[30:31], s[40:41], v[120:121]
	v_mul_f64 v[32:33], v[32:33], s[28:29]
	v_mul_f64 v[98:99], v[42:43], s[10:11]
	v_fma_f64 v[94:95], v[18:19], s[10:11], v[90:91]
	v_fma_f64 v[90:91], v[18:19], s[10:11], -v[90:91]
	v_add_f64 v[60:61], v[108:109], v[60:61]
	v_mul_f64 v[108:109], v[42:43], s[34:35]
	v_add_f64 v[76:77], v[104:105], v[76:77]
	v_fma_f64 v[104:105], v[18:19], s[34:35], v[102:103]
	v_add_f64 v[96:97], v[110:111], v[96:97]
	v_mul_f64 v[110:111], v[44:45], s[30:31]
	v_add_f64 v[40:41], v[40:41], v[46:47]
	v_fma_f64 v[46:47], v[16:17], s[10:11], v[14:15]
	v_add_f64 v[70:71], v[112:113], v[70:71]
	v_mul_f64 v[112:113], v[42:43], s[20:21]
	v_add_f64 v[24:25], v[24:25], v[106:107]
	v_add_f64 v[0:1], v[26:27], v[0:1]
	v_fma_f64 v[106:107], v[28:29], s[18:19], v[48:49]
	v_mul_f64 v[26:27], v[44:45], s[16:17]
	v_add_f64 v[2:3], v[22:23], v[2:3]
	v_mul_f64 v[22:23], v[42:43], s[28:29]
	v_add_f64 v[12:13], v[34:35], v[12:13]
	v_fma_f64 v[34:35], v[16:17], s[28:29], v[36:37]
	v_add_f64 v[30:31], v[30:31], v[38:39]
	v_fma_f64 v[38:39], v[28:29], s[38:39], v[32:33]
	v_mul_f64 v[44:45], v[44:45], s[36:37]
	v_mul_f64 v[42:43], v[42:43], s[26:27]
	v_fma_f64 v[36:37], v[16:17], s[28:29], -v[36:37]
	v_fma_f64 v[32:33], v[28:29], s[16:17], v[32:33]
	v_fma_f64 v[14:15], v[16:17], s[10:11], -v[14:15]
	v_fma_f64 v[48:49], v[28:29], s[14:15], v[48:49]
	;; [unrolled: 2-line block ×3, first 2 shown]
	v_fma_f64 v[114:115], v[20:21], s[18:19], v[98:99]
	v_fma_f64 v[100:101], v[20:21], s[40:41], v[108:109]
	;; [unrolled: 1-line block ×3, first 2 shown]
	v_add_f64 v[46:47], v[46:47], v[76:77]
	v_fma_f64 v[76:77], v[20:21], s[12:13], v[112:113]
	v_fma_f64 v[110:111], v[18:19], s[20:21], -v[110:111]
	v_add_f64 v[60:61], v[106:107], v[60:61]
	v_fma_f64 v[106:107], v[18:19], s[28:29], v[26:27]
	v_fma_f64 v[112:113], v[20:21], s[30:31], v[112:113]
	;; [unrolled: 1-line block ×4, first 2 shown]
	v_add_f64 v[40:41], v[34:35], v[40:41]
	v_fma_f64 v[102:103], v[18:19], s[34:35], -v[102:103]
	v_add_f64 v[38:39], v[38:39], v[24:25]
	v_fma_f64 v[122:123], v[18:19], s[26:27], v[44:45]
	v_fma_f64 v[124:125], v[20:21], s[8:9], v[42:43]
	v_add_f64 v[126:127], v[36:37], v[0:1]
	v_add_f64 v[128:129], v[32:33], v[2:3]
	v_fma_f64 v[44:45], v[18:19], s[26:27], -v[44:45]
	v_fma_f64 v[130:131], v[20:21], s[36:37], v[42:43]
	v_add_f64 v[96:97], v[14:15], v[96:97]
	v_add_f64 v[48:49], v[48:49], v[70:71]
	v_fma_f64 v[70:71], v[18:19], s[28:29], -v[26:27]
	v_fma_f64 v[108:109], v[20:21], s[22:23], v[108:109]
	v_add_f64 v[132:133], v[16:17], v[12:13]
	v_add_f64 v[134:135], v[28:29], v[30:31]
	v_fma_f64 v[98:99], v[20:21], s[14:15], v[98:99]
	v_add_f64 v[12:13], v[94:95], v[74:75]
	v_add_f64 v[14:15], v[114:115], v[62:63]
	;; [unrolled: 1-line block ×22, first 2 shown]
	v_mul_u32_u24_e32 v52, 0xd0, v64
	v_add3_u32 v52, 0, v52, v56
	ds_write_b128 v52, v[4:7]
	ds_write_b128 v52, v[8:11] offset:16
	ds_write_b128 v52, v[12:15] offset:32
	;; [unrolled: 1-line block ×12, first 2 shown]
	s_waitcnt lgkmcnt(0)
	s_barrier
	buffer_gl0_inv
	ds_read_b128 v[16:19], v57
	ds_read_b128 v[20:23], v65 offset:64
	ds_read_b128 v[44:47], v65 offset:416
	;; [unrolled: 1-line block ×11, first 2 shown]
                                        ; implicit-def: $vgpr6_vgpr7
                                        ; implicit-def: $vgpr10_vgpr11
                                        ; implicit-def: $vgpr14_vgpr15
	s_and_saveexec_b32 s1, s0
	s_cbranch_execz .LBB0_14
; %bb.13:
	ds_read_b128 v[0:3], v67 offset:192
	ds_read_b128 v[4:7], v67 offset:400
	;; [unrolled: 1-line block ×4, first 2 shown]
.LBB0_14:
	s_or_b32 exec_lo, exec_lo, s1
	v_mul_u32_u24_e32 v70, 3, v64
	v_lshl_add_u32 v68, v68, 4, v69
	v_lshlrev_b32_e32 v103, 4, v70
	s_clause 0x8
	global_load_dwordx4 v[71:74], v103, s[6:7]
	global_load_dwordx4 v[75:78], v103, s[6:7] offset:16
	global_load_dwordx4 v[79:82], v103, s[6:7] offset:32
	;; [unrolled: 1-line block ×8, first 2 shown]
	s_waitcnt vmcnt(0) lgkmcnt(0)
	s_barrier
	buffer_gl0_inv
	v_mul_f64 v[107:108], v[58:59], v[73:74]
	v_mul_f64 v[73:74], v[56:57], v[73:74]
	;; [unrolled: 1-line block ×18, first 2 shown]
	v_fma_f64 v[56:57], v[56:57], v[71:72], v[107:108]
	v_fma_f64 v[58:59], v[58:59], v[71:72], -v[73:74]
	v_fma_f64 v[44:45], v[44:45], v[75:76], v[109:110]
	v_fma_f64 v[46:47], v[46:47], v[75:76], -v[77:78]
	;; [unrolled: 2-line block ×9, first 2 shown]
	v_add_f64 v[44:45], v[16:17], -v[44:45]
	v_add_f64 v[46:47], v[18:19], -v[46:47]
	;; [unrolled: 1-line block ×12, first 2 shown]
	v_fma_f64 v[75:76], v[16:17], 2.0, -v[44:45]
	v_fma_f64 v[77:78], v[18:19], 2.0, -v[46:47]
	v_fma_f64 v[40:41], v[56:57], 2.0, -v[60:61]
	v_fma_f64 v[42:43], v[58:59], 2.0, -v[62:63]
	v_add_f64 v[16:17], v[44:45], v[62:63]
	v_add_f64 v[18:19], v[46:47], -v[60:61]
	v_fma_f64 v[56:57], v[20:21], 2.0, -v[71:72]
	v_fma_f64 v[58:59], v[22:23], 2.0, -v[73:74]
	v_fma_f64 v[48:49], v[48:49], 2.0, -v[28:29]
	v_fma_f64 v[50:51], v[50:51], 2.0, -v[30:31]
	v_add_f64 v[20:21], v[71:72], v[30:31]
	v_add_f64 v[22:23], v[73:74], -v[28:29]
	;; [unrolled: 6-line block ×3, first 2 shown]
	v_add_f64 v[28:29], v[75:76], -v[40:41]
	v_add_f64 v[30:31], v[77:78], -v[42:43]
	v_fma_f64 v[40:41], v[44:45], 2.0, -v[16:17]
	v_fma_f64 v[42:43], v[46:47], 2.0, -v[18:19]
	v_add_f64 v[32:33], v[56:57], -v[48:49]
	v_add_f64 v[34:35], v[58:59], -v[50:51]
	v_fma_f64 v[44:45], v[71:72], 2.0, -v[20:21]
	v_fma_f64 v[46:47], v[73:74], 2.0, -v[22:23]
	;; [unrolled: 4-line block ×3, first 2 shown]
	v_fma_f64 v[52:53], v[75:76], 2.0, -v[28:29]
	v_fma_f64 v[54:55], v[77:78], 2.0, -v[30:31]
	;; [unrolled: 1-line block ×6, first 2 shown]
	ds_write_b128 v65, v[16:19] offset:624
	ds_write_b128 v68, v[20:23] offset:688
	;; [unrolled: 1-line block ×8, first 2 shown]
	ds_write_b128 v65, v[52:55]
	ds_write_b128 v65, v[56:59] offset:64
	ds_write_b128 v65, v[60:63] offset:128
	;; [unrolled: 1-line block ×3, first 2 shown]
	s_and_saveexec_b32 s1, s0
	s_cbranch_execz .LBB0_16
; %bb.15:
	v_add_nc_u32_e32 v16, -3, v70
	v_mov_b32_e32 v17, 0
	v_cndmask_b32_e64 v16, v16, 36, s0
	v_lshlrev_b64 v[16:17], 4, v[16:17]
	v_add_co_u32 v24, s0, s6, v16
	v_add_co_ci_u32_e64 v25, s0, s7, v17, s0
	s_clause 0x2
	global_load_dwordx4 v[16:19], v[24:25], off offset:16
	global_load_dwordx4 v[20:23], v[24:25], off
	global_load_dwordx4 v[24:27], v[24:25], off offset:32
	s_waitcnt vmcnt(2)
	v_mul_f64 v[28:29], v[8:9], v[18:19]
	s_waitcnt vmcnt(1)
	v_mul_f64 v[30:31], v[6:7], v[22:23]
	v_mul_f64 v[22:23], v[4:5], v[22:23]
	s_waitcnt vmcnt(0)
	v_mul_f64 v[32:33], v[12:13], v[26:27]
	v_mul_f64 v[18:19], v[10:11], v[18:19]
	;; [unrolled: 1-line block ×3, first 2 shown]
	v_fma_f64 v[10:11], v[10:11], v[16:17], -v[28:29]
	v_fma_f64 v[4:5], v[4:5], v[20:21], v[30:31]
	v_fma_f64 v[6:7], v[6:7], v[20:21], -v[22:23]
	v_fma_f64 v[14:15], v[14:15], v[24:25], -v[32:33]
	v_fma_f64 v[8:9], v[8:9], v[16:17], v[18:19]
	v_fma_f64 v[12:13], v[12:13], v[24:25], v[26:27]
	v_add_f64 v[10:11], v[2:3], -v[10:11]
	v_add_f64 v[14:15], v[6:7], -v[14:15]
	;; [unrolled: 1-line block ×4, first 2 shown]
	v_fma_f64 v[16:17], v[2:3], 2.0, -v[10:11]
	v_fma_f64 v[6:7], v[6:7], 2.0, -v[14:15]
	;; [unrolled: 1-line block ×4, first 2 shown]
	v_add_f64 v[2:3], v[10:11], -v[12:13]
	v_add_f64 v[0:1], v[8:9], v[14:15]
	v_add_f64 v[6:7], v[16:17], -v[6:7]
	v_add_f64 v[4:5], v[18:19], -v[4:5]
	v_fma_f64 v[10:11], v[10:11], 2.0, -v[2:3]
	v_fma_f64 v[8:9], v[8:9], 2.0, -v[0:1]
	;; [unrolled: 1-line block ×4, first 2 shown]
	ds_write_b128 v67, v[8:11] offset:400
	ds_write_b128 v67, v[4:7] offset:608
	;; [unrolled: 1-line block ×4, first 2 shown]
.LBB0_16:
	s_or_b32 exec_lo, exec_lo, s1
	s_waitcnt lgkmcnt(0)
	s_barrier
	buffer_gl0_inv
	s_and_saveexec_b32 s0, vcc_lo
	s_cbranch_execz .LBB0_18
; %bb.17:
	v_mad_u64_u32 v[8:9], null, s2, v66, 0
	s_load_dwordx2 s[0:1], s[4:5], 0x58
	v_mov_b32_e32 v65, 0
	v_lshl_add_u32 v28, v64, 4, v67
	v_add_nc_u32_e32 v16, 4, v64
	v_add_nc_u32_e32 v18, 8, v64
	;; [unrolled: 1-line block ×3, first 2 shown]
	v_mov_b32_e32 v0, v9
	v_mov_b32_e32 v17, v65
	v_lshlrev_b64 v[22:23], 4, v[64:65]
	v_mov_b32_e32 v19, v65
	v_mov_b32_e32 v21, v65
	v_mad_u64_u32 v[0:1], null, s3, v66, v[0:1]
	v_lshlrev_b64 v[16:17], 4, v[16:17]
	v_lshlrev_b64 v[18:19], 4, v[18:19]
	;; [unrolled: 1-line block ×3, first 2 shown]
	v_mov_b32_e32 v9, v0
	ds_read_b128 v[0:3], v28
	ds_read_b128 v[4:7], v28 offset:64
	v_lshlrev_b64 v[24:25], 4, v[8:9]
	ds_read_b128 v[8:11], v28 offset:128
	ds_read_b128 v[12:15], v28 offset:192
	s_waitcnt lgkmcnt(0)
	v_add_co_u32 v30, vcc_lo, s0, v24
	v_add_co_ci_u32_e32 v31, vcc_lo, s1, v25, vcc_lo
	v_add_nc_u32_e32 v24, 16, v64
	v_add_co_u32 v22, vcc_lo, v30, v22
	v_add_co_ci_u32_e32 v23, vcc_lo, v31, v23, vcc_lo
	v_add_co_u32 v16, vcc_lo, v30, v16
	v_add_co_ci_u32_e32 v17, vcc_lo, v31, v17, vcc_lo
	;; [unrolled: 2-line block ×3, first 2 shown]
	v_mov_b32_e32 v25, v65
	v_add_co_u32 v20, vcc_lo, v30, v20
	v_add_co_ci_u32_e32 v21, vcc_lo, v31, v21, vcc_lo
	global_store_dwordx4 v[22:23], v[0:3], off
	global_store_dwordx4 v[16:17], v[4:7], off
	;; [unrolled: 1-line block ×4, first 2 shown]
	v_lshlrev_b64 v[0:1], 4, v[24:25]
	v_add_nc_u32_e32 v8, 20, v64
	v_mov_b32_e32 v9, v65
	v_add_nc_u32_e32 v10, 24, v64
	v_mov_b32_e32 v11, v65
	v_add_nc_u32_e32 v22, 28, v64
	v_add_co_u32 v16, vcc_lo, v30, v0
	v_add_co_ci_u32_e32 v17, vcc_lo, v31, v1, vcc_lo
	ds_read_b128 v[0:3], v28 offset:256
	ds_read_b128 v[4:7], v28 offset:320
	v_lshlrev_b64 v[18:19], 4, v[8:9]
	v_lshlrev_b64 v[20:21], 4, v[10:11]
	ds_read_b128 v[8:11], v28 offset:384
	ds_read_b128 v[12:15], v28 offset:448
	v_mov_b32_e32 v23, v65
	v_add_nc_u32_e32 v24, 32, v64
	v_add_co_u32 v18, vcc_lo, v30, v18
	v_lshlrev_b64 v[22:23], 4, v[22:23]
	v_add_co_ci_u32_e32 v19, vcc_lo, v31, v19, vcc_lo
	v_add_co_u32 v20, vcc_lo, v30, v20
	v_add_co_ci_u32_e32 v21, vcc_lo, v31, v21, vcc_lo
	v_add_co_u32 v22, vcc_lo, v30, v22
	s_waitcnt lgkmcnt(3)
	global_store_dwordx4 v[16:17], v[0:3], off
	s_waitcnt lgkmcnt(2)
	global_store_dwordx4 v[18:19], v[4:7], off
	v_add_nc_u32_e32 v2, 36, v64
	v_mov_b32_e32 v3, v65
	v_add_co_ci_u32_e32 v23, vcc_lo, v31, v23, vcc_lo
	v_lshlrev_b64 v[0:1], 4, v[24:25]
	s_waitcnt lgkmcnt(1)
	global_store_dwordx4 v[20:21], v[8:11], off
	s_waitcnt lgkmcnt(0)
	global_store_dwordx4 v[22:23], v[12:15], off
	v_lshlrev_b64 v[8:9], 4, v[2:3]
	v_add_nc_u32_e32 v10, 40, v64
	v_mov_b32_e32 v11, v65
	v_add_co_u32 v20, vcc_lo, v30, v0
	v_add_co_ci_u32_e32 v21, vcc_lo, v31, v1, vcc_lo
	v_add_co_u32 v22, vcc_lo, v30, v8
	ds_read_b128 v[0:3], v28 offset:512
	ds_read_b128 v[4:7], v28 offset:576
	v_add_co_ci_u32_e32 v23, vcc_lo, v31, v9, vcc_lo
	v_lshlrev_b64 v[26:27], 4, v[10:11]
	ds_read_b128 v[8:11], v28 offset:640
	ds_read_b128 v[12:15], v28 offset:704
	;; [unrolled: 1-line block ×3, first 2 shown]
	v_add_nc_u32_e32 v24, 44, v64
	v_add_nc_u32_e32 v64, 48, v64
	v_add_co_u32 v26, vcc_lo, v30, v26
	v_lshlrev_b64 v[24:25], 4, v[24:25]
	v_lshlrev_b64 v[28:29], 4, v[64:65]
	v_add_co_ci_u32_e32 v27, vcc_lo, v31, v27, vcc_lo
	v_add_co_u32 v24, vcc_lo, v30, v24
	v_add_co_ci_u32_e32 v25, vcc_lo, v31, v25, vcc_lo
	v_add_co_u32 v28, vcc_lo, v30, v28
	v_add_co_ci_u32_e32 v29, vcc_lo, v31, v29, vcc_lo
	s_waitcnt lgkmcnt(4)
	global_store_dwordx4 v[20:21], v[0:3], off
	s_waitcnt lgkmcnt(3)
	global_store_dwordx4 v[22:23], v[4:7], off
	;; [unrolled: 2-line block ×5, first 2 shown]
.LBB0_18:
	s_endpgm
	.section	.rodata,"a",@progbits
	.p2align	6, 0x0
	.amdhsa_kernel fft_rtc_back_len52_factors_13_4_wgs_128_tpt_4_halfLds_dim1_dp_op_CI_CI_unitstride_sbrr_C2R_dirReg
		.amdhsa_group_segment_fixed_size 0
		.amdhsa_private_segment_fixed_size 0
		.amdhsa_kernarg_size 96
		.amdhsa_user_sgpr_count 6
		.amdhsa_user_sgpr_private_segment_buffer 1
		.amdhsa_user_sgpr_dispatch_ptr 0
		.amdhsa_user_sgpr_queue_ptr 0
		.amdhsa_user_sgpr_kernarg_segment_ptr 1
		.amdhsa_user_sgpr_dispatch_id 0
		.amdhsa_user_sgpr_flat_scratch_init 0
		.amdhsa_user_sgpr_private_segment_size 0
		.amdhsa_wavefront_size32 1
		.amdhsa_uses_dynamic_stack 0
		.amdhsa_system_sgpr_private_segment_wavefront_offset 0
		.amdhsa_system_sgpr_workgroup_id_x 1
		.amdhsa_system_sgpr_workgroup_id_y 0
		.amdhsa_system_sgpr_workgroup_id_z 0
		.amdhsa_system_sgpr_workgroup_info 0
		.amdhsa_system_vgpr_workitem_id 0
		.amdhsa_next_free_vgpr 146
		.amdhsa_next_free_sgpr 46
		.amdhsa_reserve_vcc 1
		.amdhsa_reserve_flat_scratch 0
		.amdhsa_float_round_mode_32 0
		.amdhsa_float_round_mode_16_64 0
		.amdhsa_float_denorm_mode_32 3
		.amdhsa_float_denorm_mode_16_64 3
		.amdhsa_dx10_clamp 1
		.amdhsa_ieee_mode 1
		.amdhsa_fp16_overflow 0
		.amdhsa_workgroup_processor_mode 1
		.amdhsa_memory_ordered 1
		.amdhsa_forward_progress 0
		.amdhsa_shared_vgpr_count 0
		.amdhsa_exception_fp_ieee_invalid_op 0
		.amdhsa_exception_fp_denorm_src 0
		.amdhsa_exception_fp_ieee_div_zero 0
		.amdhsa_exception_fp_ieee_overflow 0
		.amdhsa_exception_fp_ieee_underflow 0
		.amdhsa_exception_fp_ieee_inexact 0
		.amdhsa_exception_int_div_zero 0
	.end_amdhsa_kernel
	.text
.Lfunc_end0:
	.size	fft_rtc_back_len52_factors_13_4_wgs_128_tpt_4_halfLds_dim1_dp_op_CI_CI_unitstride_sbrr_C2R_dirReg, .Lfunc_end0-fft_rtc_back_len52_factors_13_4_wgs_128_tpt_4_halfLds_dim1_dp_op_CI_CI_unitstride_sbrr_C2R_dirReg
                                        ; -- End function
	.section	.AMDGPU.csdata,"",@progbits
; Kernel info:
; codeLenInByte = 7644
; NumSgprs: 48
; NumVgprs: 146
; ScratchSize: 0
; MemoryBound: 0
; FloatMode: 240
; IeeeMode: 1
; LDSByteSize: 0 bytes/workgroup (compile time only)
; SGPRBlocks: 5
; VGPRBlocks: 18
; NumSGPRsForWavesPerEU: 48
; NumVGPRsForWavesPerEU: 146
; Occupancy: 6
; WaveLimiterHint : 1
; COMPUTE_PGM_RSRC2:SCRATCH_EN: 0
; COMPUTE_PGM_RSRC2:USER_SGPR: 6
; COMPUTE_PGM_RSRC2:TRAP_HANDLER: 0
; COMPUTE_PGM_RSRC2:TGID_X_EN: 1
; COMPUTE_PGM_RSRC2:TGID_Y_EN: 0
; COMPUTE_PGM_RSRC2:TGID_Z_EN: 0
; COMPUTE_PGM_RSRC2:TIDIG_COMP_CNT: 0
	.text
	.p2alignl 6, 3214868480
	.fill 48, 4, 3214868480
	.type	__hip_cuid_2615fdb1c3628b83,@object ; @__hip_cuid_2615fdb1c3628b83
	.section	.bss,"aw",@nobits
	.globl	__hip_cuid_2615fdb1c3628b83
__hip_cuid_2615fdb1c3628b83:
	.byte	0                               ; 0x0
	.size	__hip_cuid_2615fdb1c3628b83, 1

	.ident	"AMD clang version 19.0.0git (https://github.com/RadeonOpenCompute/llvm-project roc-6.4.0 25133 c7fe45cf4b819c5991fe208aaa96edf142730f1d)"
	.section	".note.GNU-stack","",@progbits
	.addrsig
	.addrsig_sym __hip_cuid_2615fdb1c3628b83
	.amdgpu_metadata
---
amdhsa.kernels:
  - .args:
      - .actual_access:  read_only
        .address_space:  global
        .offset:         0
        .size:           8
        .value_kind:     global_buffer
      - .actual_access:  read_only
        .address_space:  global
        .offset:         8
        .size:           8
        .value_kind:     global_buffer
      - .actual_access:  read_only
        .address_space:  global
        .offset:         16
        .size:           8
        .value_kind:     global_buffer
      - .actual_access:  read_only
        .address_space:  global
        .offset:         24
        .size:           8
        .value_kind:     global_buffer
      - .offset:         32
        .size:           8
        .value_kind:     by_value
      - .actual_access:  read_only
        .address_space:  global
        .offset:         40
        .size:           8
        .value_kind:     global_buffer
      - .actual_access:  read_only
        .address_space:  global
        .offset:         48
        .size:           8
        .value_kind:     global_buffer
      - .offset:         56
        .size:           4
        .value_kind:     by_value
      - .actual_access:  read_only
        .address_space:  global
        .offset:         64
        .size:           8
        .value_kind:     global_buffer
      - .actual_access:  read_only
        .address_space:  global
        .offset:         72
        .size:           8
        .value_kind:     global_buffer
      - .actual_access:  read_only
        .address_space:  global
        .offset:         80
        .size:           8
        .value_kind:     global_buffer
      - .actual_access:  write_only
        .address_space:  global
        .offset:         88
        .size:           8
        .value_kind:     global_buffer
    .group_segment_fixed_size: 0
    .kernarg_segment_align: 8
    .kernarg_segment_size: 96
    .language:       OpenCL C
    .language_version:
      - 2
      - 0
    .max_flat_workgroup_size: 128
    .name:           fft_rtc_back_len52_factors_13_4_wgs_128_tpt_4_halfLds_dim1_dp_op_CI_CI_unitstride_sbrr_C2R_dirReg
    .private_segment_fixed_size: 0
    .sgpr_count:     48
    .sgpr_spill_count: 0
    .symbol:         fft_rtc_back_len52_factors_13_4_wgs_128_tpt_4_halfLds_dim1_dp_op_CI_CI_unitstride_sbrr_C2R_dirReg.kd
    .uniform_work_group_size: 1
    .uses_dynamic_stack: false
    .vgpr_count:     146
    .vgpr_spill_count: 0
    .wavefront_size: 32
    .workgroup_processor_mode: 1
amdhsa.target:   amdgcn-amd-amdhsa--gfx1030
amdhsa.version:
  - 1
  - 2
...

	.end_amdgpu_metadata
